;; amdgpu-corpus repo=ROCm/rocFFT kind=compiled arch=gfx950 opt=O3
	.text
	.amdgcn_target "amdgcn-amd-amdhsa--gfx950"
	.amdhsa_code_object_version 6
	.protected	fft_rtc_fwd_len375_factors_5_5_5_3_wgs_125_tpt_25_halfLds_sp_ip_CI_sbrr_dirReg ; -- Begin function fft_rtc_fwd_len375_factors_5_5_5_3_wgs_125_tpt_25_halfLds_sp_ip_CI_sbrr_dirReg
	.globl	fft_rtc_fwd_len375_factors_5_5_5_3_wgs_125_tpt_25_halfLds_sp_ip_CI_sbrr_dirReg
	.p2align	8
	.type	fft_rtc_fwd_len375_factors_5_5_5_3_wgs_125_tpt_25_halfLds_sp_ip_CI_sbrr_dirReg,@function
fft_rtc_fwd_len375_factors_5_5_5_3_wgs_125_tpt_25_halfLds_sp_ip_CI_sbrr_dirReg: ; @fft_rtc_fwd_len375_factors_5_5_5_3_wgs_125_tpt_25_halfLds_sp_ip_CI_sbrr_dirReg
; %bb.0:
	s_load_dwordx2 s[12:13], s[0:1], 0x18
	s_load_dwordx4 s[4:7], s[0:1], 0x0
	s_load_dwordx2 s[10:11], s[0:1], 0x50
	v_mul_u32_u24_e32 v1, 0xa3e, v0
	v_lshrrev_b32_e32 v2, 16, v1
	s_waitcnt lgkmcnt(0)
	s_load_dwordx2 s[8:9], s[12:13], 0x0
	v_mad_u64_u32 v[2:3], s[2:3], s2, 5, v[2:3]
	v_mov_b32_e32 v6, 0
	v_mov_b32_e32 v3, v6
	v_cmp_lt_u64_e64 s[2:3], s[6:7], 2
	s_and_b64 vcc, exec, s[2:3]
	v_mov_b64_e32 v[4:5], 0
	v_mov_b64_e32 v[10:11], v[2:3]
	s_cbranch_vccnz .LBB0_8
; %bb.1:
	s_load_dwordx2 s[2:3], s[0:1], 0x10
	s_add_u32 s14, s12, 8
	s_addc_u32 s15, s13, 0
	s_mov_b64 s[16:17], 1
	v_mov_b64_e32 v[4:5], 0
	s_waitcnt lgkmcnt(0)
	s_add_u32 s18, s2, 8
	s_addc_u32 s19, s3, 0
	v_mov_b64_e32 v[8:9], v[2:3]
.LBB0_2:                                ; =>This Inner Loop Header: Depth=1
	s_load_dwordx2 s[20:21], s[18:19], 0x0
                                        ; implicit-def: $vgpr10_vgpr11
	s_waitcnt lgkmcnt(0)
	v_or_b32_e32 v7, s21, v9
	v_cmp_ne_u64_e32 vcc, 0, v[6:7]
	s_and_saveexec_b64 s[2:3], vcc
	s_xor_b64 s[22:23], exec, s[2:3]
	s_cbranch_execz .LBB0_4
; %bb.3:                                ;   in Loop: Header=BB0_2 Depth=1
	v_cvt_f32_u32_e32 v1, s20
	v_cvt_f32_u32_e32 v3, s21
	s_sub_u32 s2, 0, s20
	s_subb_u32 s3, 0, s21
	v_fmac_f32_e32 v1, 0x4f800000, v3
	v_rcp_f32_e32 v1, v1
	s_nop 0
	v_mul_f32_e32 v1, 0x5f7ffffc, v1
	v_mul_f32_e32 v3, 0x2f800000, v1
	v_trunc_f32_e32 v3, v3
	v_fmac_f32_e32 v1, 0xcf800000, v3
	v_cvt_u32_f32_e32 v3, v3
	v_cvt_u32_f32_e32 v1, v1
	v_mul_lo_u32 v7, s2, v3
	v_mul_hi_u32 v10, s2, v1
	v_mul_lo_u32 v11, s3, v1
	v_add_u32_e32 v7, v10, v7
	v_mul_lo_u32 v14, s2, v1
	v_add_u32_e32 v7, v7, v11
	v_mul_hi_u32 v10, v1, v14
	v_mul_hi_u32 v13, v1, v7
	v_mul_lo_u32 v12, v1, v7
	v_mov_b32_e32 v11, v6
	v_lshl_add_u64 v[10:11], v[10:11], 0, v[12:13]
	v_mul_hi_u32 v13, v3, v14
	v_mul_lo_u32 v14, v3, v14
	v_add_co_u32_e32 v10, vcc, v10, v14
	v_mul_hi_u32 v12, v3, v7
	s_nop 0
	v_addc_co_u32_e32 v10, vcc, v11, v13, vcc
	v_mov_b32_e32 v11, v6
	s_nop 0
	v_addc_co_u32_e32 v13, vcc, 0, v12, vcc
	v_mul_lo_u32 v12, v3, v7
	v_lshl_add_u64 v[10:11], v[10:11], 0, v[12:13]
	v_add_co_u32_e32 v1, vcc, v1, v10
	v_mul_hi_u32 v10, s2, v1
	s_nop 0
	v_addc_co_u32_e32 v3, vcc, v3, v11, vcc
	v_mul_lo_u32 v7, s2, v3
	v_add_u32_e32 v7, v10, v7
	v_mul_lo_u32 v10, s3, v1
	v_add_u32_e32 v7, v7, v10
	v_mul_lo_u32 v12, s2, v1
	v_mul_hi_u32 v15, v3, v12
	v_mul_lo_u32 v16, v3, v12
	v_mul_hi_u32 v11, v1, v7
	;; [unrolled: 2-line block ×3, first 2 shown]
	v_mov_b32_e32 v13, v6
	v_lshl_add_u64 v[10:11], v[12:13], 0, v[10:11]
	v_add_co_u32_e32 v10, vcc, v10, v16
	v_mul_hi_u32 v14, v3, v7
	s_nop 0
	v_addc_co_u32_e32 v10, vcc, v11, v15, vcc
	v_mul_lo_u32 v12, v3, v7
	s_nop 0
	v_addc_co_u32_e32 v13, vcc, 0, v14, vcc
	v_mov_b32_e32 v11, v6
	v_lshl_add_u64 v[10:11], v[10:11], 0, v[12:13]
	v_add_co_u32_e32 v1, vcc, v1, v10
	v_mul_hi_u32 v12, v8, v1
	s_nop 0
	v_addc_co_u32_e32 v3, vcc, v3, v11, vcc
	v_mad_u64_u32 v[10:11], s[2:3], v8, v3, 0
	v_mov_b32_e32 v13, v6
	v_lshl_add_u64 v[10:11], v[12:13], 0, v[10:11]
	v_mad_u64_u32 v[14:15], s[2:3], v9, v1, 0
	v_add_co_u32_e32 v1, vcc, v10, v14
	v_mad_u64_u32 v[12:13], s[2:3], v9, v3, 0
	s_nop 0
	v_addc_co_u32_e32 v10, vcc, v11, v15, vcc
	v_mov_b32_e32 v11, v6
	s_nop 0
	v_addc_co_u32_e32 v13, vcc, 0, v13, vcc
	v_lshl_add_u64 v[10:11], v[10:11], 0, v[12:13]
	v_mul_lo_u32 v1, s21, v10
	v_mul_lo_u32 v3, s20, v11
	v_mad_u64_u32 v[12:13], s[2:3], s20, v10, 0
	v_add3_u32 v1, v13, v3, v1
	v_sub_u32_e32 v3, v9, v1
	v_mov_b32_e32 v7, s21
	v_sub_co_u32_e32 v16, vcc, v8, v12
	v_lshl_add_u64 v[14:15], v[10:11], 0, 1
	s_nop 0
	v_subb_co_u32_e64 v3, s[2:3], v3, v7, vcc
	v_subrev_co_u32_e64 v7, s[2:3], s20, v16
	v_subb_co_u32_e32 v1, vcc, v9, v1, vcc
	s_nop 0
	v_subbrev_co_u32_e64 v3, s[2:3], 0, v3, s[2:3]
	v_cmp_le_u32_e64 s[2:3], s21, v3
	v_cmp_le_u32_e32 vcc, s21, v1
	s_nop 0
	v_cndmask_b32_e64 v12, 0, -1, s[2:3]
	v_cmp_le_u32_e64 s[2:3], s20, v7
	s_nop 1
	v_cndmask_b32_e64 v7, 0, -1, s[2:3]
	v_cmp_eq_u32_e64 s[2:3], s21, v3
	s_nop 1
	v_cndmask_b32_e64 v3, v12, v7, s[2:3]
	v_lshl_add_u64 v[12:13], v[10:11], 0, 2
	v_cmp_ne_u32_e64 s[2:3], 0, v3
	v_cndmask_b32_e64 v7, 0, -1, vcc
	v_cmp_le_u32_e32 vcc, s20, v16
	v_cndmask_b32_e64 v3, v15, v13, s[2:3]
	s_nop 0
	v_cndmask_b32_e64 v13, 0, -1, vcc
	v_cmp_eq_u32_e32 vcc, s21, v1
	s_nop 1
	v_cndmask_b32_e32 v1, v7, v13, vcc
	v_cmp_ne_u32_e32 vcc, 0, v1
	v_cndmask_b32_e64 v1, v14, v12, s[2:3]
	s_nop 0
	v_cndmask_b32_e32 v11, v11, v3, vcc
	v_cndmask_b32_e32 v10, v10, v1, vcc
.LBB0_4:                                ;   in Loop: Header=BB0_2 Depth=1
	s_andn2_saveexec_b64 s[2:3], s[22:23]
	s_cbranch_execz .LBB0_6
; %bb.5:                                ;   in Loop: Header=BB0_2 Depth=1
	v_cvt_f32_u32_e32 v1, s20
	s_sub_i32 s22, 0, s20
	v_mov_b32_e32 v11, v6
	v_rcp_iflag_f32_e32 v1, v1
	s_nop 0
	v_mul_f32_e32 v1, 0x4f7ffffe, v1
	v_cvt_u32_f32_e32 v1, v1
	v_mul_lo_u32 v3, s22, v1
	v_mul_hi_u32 v3, v1, v3
	v_add_u32_e32 v1, v1, v3
	v_mul_hi_u32 v1, v8, v1
	v_mul_lo_u32 v3, v1, s20
	v_sub_u32_e32 v3, v8, v3
	v_add_u32_e32 v7, 1, v1
	v_subrev_u32_e32 v10, s20, v3
	v_cmp_le_u32_e32 vcc, s20, v3
	s_nop 1
	v_cndmask_b32_e32 v3, v3, v10, vcc
	v_cndmask_b32_e32 v1, v1, v7, vcc
	v_add_u32_e32 v7, 1, v1
	v_cmp_le_u32_e32 vcc, s20, v3
	s_nop 1
	v_cndmask_b32_e32 v10, v1, v7, vcc
.LBB0_6:                                ;   in Loop: Header=BB0_2 Depth=1
	s_or_b64 exec, exec, s[2:3]
	v_mad_u64_u32 v[12:13], s[2:3], v10, s20, 0
	s_load_dwordx2 s[2:3], s[14:15], 0x0
	s_add_u32 s16, s16, 1
	v_mul_lo_u32 v1, v11, s20
	v_mul_lo_u32 v3, v10, s21
	s_addc_u32 s17, s17, 0
	v_add3_u32 v1, v13, v3, v1
	v_sub_co_u32_e32 v3, vcc, v8, v12
	s_add_u32 s14, s14, 8
	s_nop 0
	v_subb_co_u32_e32 v1, vcc, v9, v1, vcc
	s_addc_u32 s15, s15, 0
	v_mov_b64_e32 v[8:9], s[6:7]
	s_waitcnt lgkmcnt(0)
	v_mul_lo_u32 v1, s2, v1
	v_mul_lo_u32 v7, s3, v3
	v_mad_u64_u32 v[4:5], s[2:3], s2, v3, v[4:5]
	s_add_u32 s18, s18, 8
	v_cmp_ge_u64_e32 vcc, s[16:17], v[8:9]
	v_add3_u32 v5, v7, v5, v1
	s_addc_u32 s19, s19, 0
	s_cbranch_vccnz .LBB0_8
; %bb.7:                                ;   in Loop: Header=BB0_2 Depth=1
	v_mov_b64_e32 v[8:9], v[10:11]
	s_branch .LBB0_2
.LBB0_8:
	s_lshl_b64 s[2:3], s[6:7], 3
	s_add_u32 s2, s12, s2
	s_addc_u32 s3, s13, s3
	s_load_dwordx2 s[6:7], s[2:3], 0x0
	s_load_dwordx2 s[12:13], s[0:1], 0x20
	s_mov_b32 s2, 0xa3d70a4
                                        ; implicit-def: $vgpr63
                                        ; implicit-def: $vgpr64
                                        ; implicit-def: $vgpr61
                                        ; implicit-def: $vgpr62
	s_waitcnt lgkmcnt(0)
	v_mul_lo_u32 v1, s6, v11
	v_mul_lo_u32 v3, s7, v10
	v_mad_u64_u32 v[4:5], s[0:1], s6, v10, v[4:5]
	v_add3_u32 v5, v3, v5, v1
	v_mul_hi_u32 v1, v0, s2
	v_mul_u32_u24_e32 v1, 25, v1
	v_sub_u32_e32 v58, v0, v1
	v_cmp_gt_u64_e32 vcc, s[12:13], v[10:11]
	v_cmp_le_u64_e64 s[0:1], s[12:13], v[10:11]
	v_add_u32_e32 v60, 25, v58
	v_add_u32_e32 v59, 50, v58
	s_and_saveexec_b64 s[2:3], s[0:1]
	s_xor_b64 s[0:1], exec, s[2:3]
; %bb.9:
	v_add_u32_e32 v63, 25, v58
	v_add_u32_e32 v64, 50, v58
	;; [unrolled: 1-line block ×4, first 2 shown]
; %bb.10:
	s_or_saveexec_b64 s[0:1], s[0:1]
	v_lshl_add_u64 v[12:13], v[4:5], 3, s[10:11]
                                        ; implicit-def: $vgpr22
                                        ; implicit-def: $vgpr24
                                        ; implicit-def: $vgpr28
                                        ; implicit-def: $vgpr44
                                        ; implicit-def: $vgpr50
                                        ; implicit-def: $vgpr56
                                        ; implicit-def: $vgpr4
                                        ; implicit-def: $vgpr6
                                        ; implicit-def: $vgpr8
                                        ; implicit-def: $vgpr14
                                        ; implicit-def: $vgpr18
                                        ; implicit-def: $vgpr20
                                        ; implicit-def: $vgpr0
                                        ; implicit-def: $vgpr10
                                        ; implicit-def: $vgpr16
                                        ; implicit-def: $vgpr52
                                        ; implicit-def: $vgpr30
                                        ; implicit-def: $vgpr26
	s_xor_b64 exec, exec, s[0:1]
	s_cbranch_execz .LBB0_12
; %bb.11:
	v_mad_u64_u32 v[0:1], s[2:3], s8, v58, 0
	v_mov_b32_e32 v4, v1
	v_mad_u64_u32 v[4:5], s[2:3], s9, v58, v[4:5]
	v_mov_b32_e32 v1, v4
	v_add_u32_e32 v61, 0x4b, v58
	v_lshl_add_u64 v[4:5], v[0:1], 3, v[12:13]
	v_mad_u64_u32 v[0:1], s[2:3], s8, v61, 0
	v_mov_b32_e32 v6, v1
	v_mad_u64_u32 v[6:7], s[2:3], s9, v61, v[6:7]
	v_mov_b32_e32 v1, v6
	v_add_u32_e32 v3, 0x96, v58
	v_lshl_add_u64 v[6:7], v[0:1], 3, v[12:13]
	;; [unrolled: 6-line block ×4, first 2 shown]
	v_mad_u64_u32 v[0:1], s[2:3], s8, v3, 0
	v_mov_b32_e32 v14, v1
	v_mad_u64_u32 v[14:15], s[2:3], s9, v3, v[14:15]
	v_mov_b32_e32 v1, v14
	v_lshl_add_u64 v[14:15], v[0:1], 3, v[12:13]
	v_mad_u64_u32 v[0:1], s[2:3], s8, v60, 0
	v_mov_b32_e32 v16, v1
	v_mad_u64_u32 v[16:17], s[2:3], s9, v60, v[16:17]
	v_mov_b32_e32 v1, v16
	v_add_u32_e32 v62, 0x64, v58
	v_lshl_add_u64 v[18:19], v[0:1], 3, v[12:13]
	v_mad_u64_u32 v[0:1], s[2:3], s8, v62, 0
	v_mov_b32_e32 v16, v1
	v_mad_u64_u32 v[16:17], s[2:3], s9, v62, v[16:17]
	v_mov_b32_e32 v1, v16
	v_add_u32_e32 v3, 0xfa, v58
	v_lshl_add_u64 v[20:21], v[0:1], 3, v[12:13]
	v_mad_u64_u32 v[0:1], s[2:3], s8, v3, 0
	v_mov_b32_e32 v16, v1
	v_mad_u64_u32 v[16:17], s[2:3], s9, v3, v[16:17]
	v_add_u32_e32 v3, 0x145, v58
	v_mov_b32_e32 v1, v16
	v_mad_u64_u32 v[16:17], s[2:3], s8, v3, 0
	v_mov_b32_e32 v22, v17
	v_mad_u64_u32 v[22:23], s[2:3], s9, v3, v[22:23]
	;; [unrolled: 2-line block ×4, first 2 shown]
	v_add_u32_e32 v3, 0x7d, v58
	v_mov_b32_e32 v23, v24
	v_mad_u64_u32 v[24:25], s[2:3], s8, v3, 0
	v_mov_b32_e32 v26, v25
	v_mad_u64_u32 v[26:27], s[2:3], s9, v3, v[26:27]
	v_lshl_add_u64 v[0:1], v[0:1], 3, v[12:13]
	v_mov_b32_e32 v25, v26
	v_add_u32_e32 v3, 0xc8, v58
	v_lshl_add_u64 v[16:17], v[16:17], 3, v[12:13]
	v_lshl_add_u64 v[22:23], v[22:23], 3, v[12:13]
	;; [unrolled: 1-line block ×3, first 2 shown]
	global_load_dwordx2 v[28:29], v[0:1], off
	global_load_dwordx2 v[30:31], v[16:17], off
	;; [unrolled: 1-line block ×4, first 2 shown]
	v_mad_u64_u32 v[0:1], s[2:3], s8, v3, 0
	v_mov_b32_e32 v16, v1
	v_mad_u64_u32 v[16:17], s[2:3], s9, v3, v[16:17]
	v_mov_b32_e32 v1, v16
	v_add_u32_e32 v3, 0x113, v58
	v_lshl_add_u64 v[34:35], v[0:1], 3, v[12:13]
	v_mad_u64_u32 v[0:1], s[2:3], s8, v3, 0
	v_mov_b32_e32 v16, v1
	v_mad_u64_u32 v[16:17], s[2:3], s9, v3, v[16:17]
	v_mov_b32_e32 v1, v16
	v_add_u32_e32 v3, 0x15e, v58
	v_lshl_add_u64 v[36:37], v[0:1], 3, v[12:13]
	;; [unrolled: 6-line block ×3, first 2 shown]
	global_load_dwordx2 v[0:1], v[34:35], off
	global_load_dwordx2 v[22:23], v[36:37], off
	global_load_dwordx2 v[26:27], v[38:39], off
	global_load_dwordx2 v[52:53], v[14:15], off
	global_load_dwordx2 v[44:45], v[18:19], off
	global_load_dwordx2 v[40:41], v[20:21], off
	global_load_dwordx2 v[56:57], v[4:5], off
	global_load_dwordx2 v[42:43], v[6:7], off
	global_load_dwordx2 v[16:17], v[8:9], off
	global_load_dwordx2 v[50:51], v[10:11], off
	v_mad_u64_u32 v[4:5], s[2:3], s8, v3, 0
	v_mov_b32_e32 v6, v5
	v_mad_u64_u32 v[6:7], s[2:3], s9, v3, v[6:7]
	v_mov_b32_e32 v5, v6
	v_lshl_add_u64 v[4:5], v[4:5], 3, v[12:13]
	global_load_dwordx2 v[10:11], v[4:5], off
	v_mov_b32_e32 v64, v59
	v_mov_b32_e32 v63, v60
	s_waitcnt vmcnt(14)
	v_mov_b32_e32 v15, v29
	s_waitcnt vmcnt(13)
	;; [unrolled: 2-line block ×11, first 2 shown]
	v_mov_b32_e32 v18, v43
	v_mov_b32_e32 v53, v42
	s_waitcnt vmcnt(1)
	v_mov_b32_e32 v21, v51
	v_mov_b32_e32 v31, v40
	;; [unrolled: 1-line block ×3, first 2 shown]
.LBB0_12:
	s_or_b64 exec, exec, s[0:1]
	s_mov_b32 s0, 0x3f737871
	s_mov_b32 s1, 0x3f167918
	v_add_f32_e32 v3, v21, v17
	v_mov_b32_e32 v32, v53
	v_mov_b32_e32 v33, v16
	;; [unrolled: 1-line block ×4, first 2 shown]
	v_fma_f32 v65, -0.5, v3, v20
	v_pk_add_f32 v[54:55], v[32:33], v[34:35] neg_lo:[0,1] neg_hi:[0,1]
	v_add_f32_e32 v3, v19, v18
	s_mov_b32 s2, s1
	s_mov_b32 s3, s0
	v_pk_add_f32 v[40:41], v[18:19], v[20:21]
	v_pk_add_f32 v[66:67], v[18:19], v[20:21] neg_lo:[0,1] neg_hi:[0,1]
	v_fmac_f32_e32 v20, -0.5, v3
	v_pk_mul_f32 v[32:33], v[54:55], s[2:3]
	v_mov_b32_e32 v36, v30
	v_add_f32_e32 v3, v33, v20
	v_sub_f32_e32 v34, v3, v32
	v_sub_f32_e32 v3, v20, v33
	v_add_f32_e32 v35, v32, v3
	v_mov_b32_e32 v32, v31
	s_waitcnt vmcnt(0)
	v_mov_b32_e32 v33, v10
	v_mov_b32_e32 v37, v28
	v_add_f32_e32 v3, v15, v11
	v_pk_add_f32 v[36:37], v[32:33], v[36:37] neg_lo:[0,1] neg_hi:[0,1]
	v_fma_f32 v74, -0.5, v3, v14
	v_add_f32_e32 v3, v9, v8
	v_pk_add_f32 v[48:49], v[8:9], v[14:15]
	v_pk_add_f32 v[68:69], v[8:9], v[14:15] neg_lo:[0,1] neg_hi:[0,1]
	v_fmac_f32_e32 v14, -0.5, v3
	v_pk_mul_f32 v[38:39], v[36:37], s[2:3]
	v_mov_b32_e32 v42, v26
	v_add_f32_e32 v3, v39, v14
	v_sub_f32_e32 v32, v3, v38
	v_sub_f32_e32 v3, v14, v39
	v_add_f32_e32 v33, v38, v3
	v_mov_b32_e32 v38, v27
	v_mov_b32_e32 v39, v0
	;; [unrolled: 1-line block ×3, first 2 shown]
	v_add_f32_e32 v3, v7, v1
	v_pk_add_f32 v[46:47], v[38:39], v[42:43] neg_lo:[0,1] neg_hi:[0,1]
	v_fma_f32 v75, -0.5, v3, v6
	v_add_f32_e32 v3, v5, v4
	v_pk_add_f32 v[42:43], v[4:5], v[6:7]
	v_pk_add_f32 v[70:71], v[4:5], v[6:7] neg_lo:[0,1] neg_hi:[0,1]
	v_fmac_f32_e32 v6, -0.5, v3
	v_pk_mul_f32 v[72:73], v[46:47], s[2:3]
	s_mov_b32 s2, 0xcccccccd
	v_add_f32_e32 v3, v73, v6
	v_sub_f32_e32 v38, v3, v72
	v_sub_f32_e32 v3, v6, v73
	v_add_f32_e32 v39, v72, v3
	v_mul_hi_u32 v3, v2, s2
	v_lshrrev_b32_e32 v3, 2, v3
	v_lshl_add_u32 v3, v3, 2, v3
	v_sub_u32_e32 v14, v2, v3
	v_add_f32_e32 v2, v50, v16
	v_mul_f32_e32 v3, 0.5, v2
	v_mov_b32_e32 v2, v53
	v_pk_add_f32 v[2:3], v[56:57], v[2:3] op_sel_hi:[0,1] neg_lo:[0,1] neg_hi:[0,1]
	v_mov_b32_e32 v6, v53
	v_add_f32_e32 v2, v52, v53
	v_mov_b32_e32 v41, v67
	v_mov_b32_e32 v49, v69
	v_pk_add_f32 v[66:67], v[56:57], v[6:7] op_sel_hi:[1,0]
	v_mov_b32_e32 v57, v56
	v_mov_b32_e32 v56, v18
	v_mul_f32_e32 v69, 0.5, v2
	v_mov_b32_e32 v68, v19
	v_pk_add_f32 v[56:57], v[56:57], v[68:69] neg_lo:[0,1] neg_hi:[0,1]
	s_mov_b32 s2, s1
	v_sub_f32_e32 v6, v17, v21
	v_mov_b32_e32 v43, v71
	v_pk_mul_f32 v[68:69], v[56:57], s[2:3]
	v_mul_f32_e32 v71, 0x3f737871, v6
	v_mov_b32_e32 v70, 0x3f167918
	v_mov_b32_e32 v69, v68
	v_fmamk_f32 v68, v6, 0xbf737871, v57
	v_pk_add_f32 v[72:73], v[56:57], v[70:71]
	v_mov_b32_e32 v51, v16
	v_pk_add_f32 v[72:73], v[72:73], v[68:69] neg_lo:[0,1] neg_hi:[0,1]
	v_pk_fma_f32 v[68:69], v[56:57], v[70:71], v[68:69]
	v_mov_b32_e32 v67, v3
	v_mov_b32_e32 v69, v73
	v_pk_add_f32 v[72:73], v[50:51], v[52:53] neg_lo:[0,1] neg_hi:[0,1]
	v_mul_u32_u24_e32 v14, 0x177, v14
	v_add_f32_e32 v2, v72, v73
	v_mul_f32_e32 v2, 0x3e9e377a, v2
	v_mul_f32_e32 v73, 0x3f737871, v56
	v_mov_b32_e32 v72, v16
	v_pk_add_f32 v[68:69], v[2:3], v[68:69] op_sel_hi:[0,1]
	v_pk_add_f32 v[66:67], v[72:73], v[66:67]
	v_mul_f32_e32 v2, 0x3f167918, v6
	v_pk_add_f32 v[72:73], v[52:53], v[50:51] neg_lo:[0,1] neg_hi:[0,1]
	v_mov_b32_e32 v51, v2
	v_add_f32_e32 v2, v72, v73
	v_pk_add_f32 v[50:51], v[50:51], v[66:67]
	v_mul_f32_e32 v53, 0x3e9e377a, v2
	v_pk_add_f32 v[66:67], v[52:53], v[50:51]
	v_fmac_f32_e32 v3, 0xbf737871, v56
	v_lshlrev_b32_e32 v52, 2, v14
	v_add_u32_e32 v50, 0, v52
	v_fmac_f32_e32 v3, 0xbf167918, v6
	v_mad_u32_u24 v72, v58, 20, v50
	v_fmac_f32_e32 v3, 0x3e9e377a, v2
	v_add_f32_e32 v2, v28, v10
	ds_write2_b32 v72, v66, v67 offset1:1
	ds_write2_b32 v72, v68, v69 offset0:2 offset1:3
	ds_write_b32 v72, v3 offset:16
	v_mul_f32_e32 v3, 0.5, v2
	v_mov_b32_e32 v2, v31
	v_pk_add_f32 v[2:3], v[44:45], v[2:3] op_sel_hi:[0,1] neg_lo:[0,1] neg_hi:[0,1]
	v_mov_b32_e32 v6, v31
	v_add_f32_e32 v2, v30, v31
	v_pk_add_f32 v[56:57], v[44:45], v[6:7] op_sel_hi:[1,0]
	v_mov_b32_e32 v45, v44
	v_mov_b32_e32 v44, v8
	v_mul_f32_e32 v67, 0.5, v2
	v_mov_b32_e32 v66, v9
	v_pk_add_f32 v[44:45], v[44:45], v[66:67] neg_lo:[0,1] neg_hi:[0,1]
	v_sub_f32_e32 v6, v11, v15
	v_mul_f32_e32 v71, 0x3f737871, v6
	v_pk_mul_f32 v[66:67], v[44:45], s[2:3]
	v_pk_add_f32 v[68:69], v[44:45], v[70:71]
	v_mov_b32_e32 v67, v66
	v_fmamk_f32 v66, v6, 0xbf737871, v45
	v_pk_add_f32 v[68:69], v[68:69], v[66:67] neg_lo:[0,1] neg_hi:[0,1]
	v_pk_fma_f32 v[66:67], v[44:45], v[70:71], v[66:67]
	v_mov_b32_e32 v29, v10
	v_mov_b32_e32 v67, v69
	v_pk_add_f32 v[68:69], v[28:29], v[30:31] neg_lo:[0,1] neg_hi:[0,1]
	v_mov_b32_e32 v57, v3
	v_add_f32_e32 v2, v68, v69
	v_mul_f32_e32 v2, 0x3e9e377a, v2
	v_mul_f32_e32 v69, 0x3f737871, v44
	v_mov_b32_e32 v68, v10
	v_pk_add_f32 v[66:67], v[2:3], v[66:67] op_sel_hi:[0,1]
	v_pk_add_f32 v[56:57], v[68:69], v[56:57]
	v_mul_f32_e32 v2, 0x3f167918, v6
	v_pk_add_f32 v[68:69], v[30:31], v[28:29] neg_lo:[0,1] neg_hi:[0,1]
	v_mov_b32_e32 v29, v2
	v_add_f32_e32 v2, v68, v69
	v_fmac_f32_e32 v3, 0xbf737871, v44
	v_pk_add_f32 v[28:29], v[28:29], v[56:57]
	v_mul_f32_e32 v31, 0x3e9e377a, v2
	v_fmac_f32_e32 v3, 0xbf167918, v6
	v_pk_add_f32 v[28:29], v[30:31], v[28:29]
	v_mad_i32_i24 v68, v63, 20, v50
	v_fmac_f32_e32 v3, 0x3e9e377a, v2
	v_add_f32_e32 v2, v22, v0
	ds_write2_b32 v68, v28, v29 offset1:1
	ds_write2_b32 v68, v66, v67 offset0:2 offset1:3
	ds_write_b32 v68, v3 offset:16
	v_mul_f32_e32 v3, 0.5, v2
	v_mov_b32_e32 v2, v27
	v_pk_add_f32 v[2:3], v[24:25], v[2:3] op_sel_hi:[0,1] neg_lo:[0,1] neg_hi:[0,1]
	v_mov_b32_e32 v6, v27
	v_add_f32_e32 v2, v26, v27
	v_pk_add_f32 v[28:29], v[24:25], v[6:7] op_sel_hi:[1,0]
	v_mov_b32_e32 v25, v24
	v_mov_b32_e32 v24, v4
	v_mul_f32_e32 v31, 0.5, v2
	v_mov_b32_e32 v30, v5
	v_pk_add_f32 v[24:25], v[24:25], v[30:31] neg_lo:[0,1] neg_hi:[0,1]
	v_sub_f32_e32 v6, v1, v7
	v_mul_f32_e32 v71, 0x3f737871, v6
	v_pk_mul_f32 v[30:31], v[24:25], s[2:3]
	v_pk_add_f32 v[44:45], v[24:25], v[70:71]
	v_mov_b32_e32 v31, v30
	v_fmamk_f32 v30, v6, 0xbf737871, v25
	v_pk_fma_f32 v[56:57], v[24:25], v[70:71], v[30:31]
	v_pk_add_f32 v[30:31], v[44:45], v[30:31] neg_lo:[0,1] neg_hi:[0,1]
	v_mov_b32_e32 v23, v0
	v_mov_b32_e32 v57, v31
	v_pk_add_f32 v[30:31], v[22:23], v[26:27] neg_lo:[0,1] neg_hi:[0,1]
	v_mov_b32_e32 v29, v3
	v_add_f32_e32 v2, v30, v31
	v_mul_f32_e32 v2, 0x3e9e377a, v2
	v_mul_f32_e32 v45, 0x3f737871, v24
	v_mov_b32_e32 v44, v0
	v_pk_add_f32 v[30:31], v[2:3], v[56:57] op_sel_hi:[0,1]
	v_pk_add_f32 v[28:29], v[44:45], v[28:29]
	v_mul_f32_e32 v2, 0x3f167918, v6
	v_pk_add_f32 v[44:45], v[26:27], v[22:23] neg_lo:[0,1] neg_hi:[0,1]
	v_fmac_f32_e32 v3, 0xbf737871, v24
	v_mov_b32_e32 v23, v2
	v_add_f32_e32 v2, v44, v45
	v_fmac_f32_e32 v3, 0xbf167918, v6
	v_mov_b32_e32 v25, v18
	v_pk_add_f32 v[22:23], v[22:23], v[28:29]
	v_mul_f32_e32 v27, 0x3e9e377a, v2
	v_mad_i32_i24 v66, v64, 20, v50
	v_fmac_f32_e32 v3, 0x3e9e377a, v2
	v_pk_add_f32 v[24:25], v[24:25], v[16:17] neg_lo:[0,1] neg_hi:[0,1]
	v_pk_add_f32 v[22:23], v[26:27], v[22:23]
	ds_write_b32 v66, v3 offset:16
	v_mov_b32_e32 v2, v17
	v_mov_b32_e32 v3, v21
	v_mov_b32_e32 v24, v17
	ds_write2_b32 v66, v22, v23 offset1:1
	v_pk_mul_f32 v[22:23], v[54:55], s[0:1]
	s_mov_b32 s3, 0x3e9e377a
	v_pk_add_f32 v[2:3], v[2:3], v[18:19] neg_lo:[0,1] neg_hi:[0,1]
	v_pk_add_f32 v[16:17], v[24:25], v[40:41]
	v_mov_b32_e32 v54, v21
	v_mov_b32_e32 v55, 0x3e9e377a
	v_sub_f32_e32 v14, v65, v22
	v_add_f32_e32 v20, v22, v65
	v_mov_b32_e32 v22, v19
	v_pk_add_f32 v[18:19], v[54:55], v[16:17]
	v_pk_mul_f32 v[16:17], v[16:17], s[2:3]
	v_add_f32_e32 v2, v3, v2
	v_add_f32_e32 v20, v23, v20
	v_sub_f32_e32 v23, v14, v23
	v_lshlrev_b32_e32 v14, 2, v58
	v_mov_b32_e32 v19, v17
	v_lshlrev_b32_e32 v6, 4, v58
	v_lshlrev_b32_e32 v16, 4, v63
	v_mul_f32_e32 v2, 0x3e9e377a, v2
	ds_write2_b32 v66, v30, v31 offset0:2 offset1:3
	v_add_u32_e32 v31, v50, v14
	v_pk_add_f32 v[56:57], v[22:23], v[18:19]
	v_sub_u32_e32 v51, v72, v6
	v_sub_u32_e32 v29, v68, v16
	v_lshlrev_b32_e32 v16, 4, v64
	v_pk_add_f32 v[2:3], v[2:3], v[34:35] op_sel_hi:[0,1]
	s_waitcnt lgkmcnt(0)
	s_barrier
	v_lshl_add_u32 v41, v61, 2, v50
	v_add_u32_e32 v40, 0x400, v51
	v_add_f32_e32 v6, v17, v20
	v_sub_u32_e32 v45, v66, v16
	v_lshl_add_u32 v44, v62, 2, v50
	ds_read_b32 v28, v31
	ds_read_b32 v53, v41
	;; [unrolled: 1-line block ×5, first 2 shown]
	ds_read2_b32 v[18:19], v51 offset0:125 offset1:150
	ds_read2_b32 v[24:25], v51 offset0:225 offset1:250
	;; [unrolled: 1-line block ×5, first 2 shown]
	s_waitcnt lgkmcnt(0)
	s_barrier
	ds_write2_b32 v72, v56, v57 offset1:1
	ds_write2_b32 v72, v2, v3 offset0:2 offset1:3
	ds_write_b32 v72, v6 offset:16
	v_mov_b32_e32 v3, v8
	v_pk_add_f32 v[2:3], v[2:3], v[10:11] neg_lo:[0,1] neg_hi:[0,1]
	v_mov_b32_e32 v10, v11
	v_mov_b32_e32 v2, v11
	v_pk_add_f32 v[2:3], v[2:3], v[48:49]
	v_mov_b32_e32 v11, v15
	v_mov_b32_e32 v54, v15
	v_pk_mul_f32 v[34:35], v[36:37], s[0:1]
	v_pk_add_f32 v[10:11], v[10:11], v[8:9] neg_lo:[0,1] neg_hi:[0,1]
	v_sub_f32_e32 v6, v74, v34
	v_add_f32_e32 v15, v34, v74
	v_mov_b32_e32 v34, v9
	v_pk_add_f32 v[8:9], v[54:55], v[2:3]
	v_pk_mul_f32 v[2:3], v[2:3], s[2:3]
	v_add_f32_e32 v15, v35, v15
	v_sub_f32_e32 v35, v6, v35
	v_mov_b32_e32 v9, v3
	v_pk_add_f32 v[8:9], v[34:35], v[8:9]
	v_add_f32_e32 v6, v3, v15
	v_pk_mul_f32 v[2:3], v[46:47], s[0:1]
	ds_write2_b32 v68, v8, v9 offset1:1
	v_add_f32_e32 v8, v11, v10
	v_sub_f32_e32 v9, v75, v2
	v_add_f32_e32 v2, v2, v75
	v_add_f32_e32 v15, v3, v2
	v_sub_f32_e32 v3, v9, v3
	v_mul_f32_e32 v2, 0x3e9e377a, v8
	v_pk_add_f32 v[8:9], v[2:3], v[32:33] op_sel_hi:[0,1]
	ds_write2_b32 v68, v8, v9 offset0:2 offset1:3
	v_mov_b32_e32 v9, v4
	v_pk_add_f32 v[8:9], v[8:9], v[0:1] neg_lo:[0,1] neg_hi:[0,1]
	v_mov_b32_e32 v10, v1
	v_mov_b32_e32 v11, v7
	;; [unrolled: 1-line block ×3, first 2 shown]
	v_pk_add_f32 v[10:11], v[10:11], v[4:5] neg_lo:[0,1] neg_hi:[0,1]
	v_pk_add_f32 v[8:9], v[8:9], v[42:43]
	v_mov_b32_e32 v54, v7
	v_add_f32_e32 v2, v11, v10
	ds_write_b32 v68, v6 offset:16
	v_pk_add_f32 v[6:7], v[54:55], v[8:9]
	v_pk_mul_f32 v[8:9], v[8:9], s[2:3]
	v_mul_f32_e32 v0, 0x3e9e377a, v2
	v_mov_b32_e32 v7, v9
	v_mov_b32_e32 v2, v5
	v_pk_add_f32 v[2:3], v[2:3], v[6:7]
	v_pk_add_f32 v[0:1], v[0:1], v[38:39] op_sel_hi:[0,1]
	s_movk_i32 s0, 0xcd
	v_add_f32_e32 v4, v9, v15
	ds_write2_b32 v66, v2, v3 offset1:1
	ds_write2_b32 v66, v0, v1 offset0:2 offset1:3
	ds_write_b32 v66, v4 offset:16
	v_mul_lo_u16_sdwa v0, v58, s0 dst_sel:DWORD dst_unused:UNUSED_PAD src0_sel:BYTE_0 src1_sel:DWORD
	v_lshrrev_b16_e32 v15, 10, v0
	v_mul_lo_u16_e32 v0, 5, v15
	v_sub_u16_e32 v56, v58, v0
	v_mov_b32_e32 v0, 5
	v_lshlrev_b32_sdwa v4, v0, v56 dst_sel:DWORD dst_unused:UNUSED_PAD src0_sel:DWORD src1_sel:BYTE_0
	s_waitcnt lgkmcnt(0)
	s_barrier
	global_load_dwordx4 v[8:11], v4, s[4:5] offset:16
	v_mul_lo_u16_sdwa v1, v63, s0 dst_sel:DWORD dst_unused:UNUSED_PAD src0_sel:BYTE_0 src1_sel:DWORD
	v_lshrrev_b16_e32 v32, 10, v1
	v_mul_lo_u16_e32 v1, 5, v32
	v_sub_u16_e32 v57, v63, v1
	v_lshlrev_b32_sdwa v54, v0, v57 dst_sel:DWORD dst_unused:UNUSED_PAD src0_sel:DWORD src1_sel:BYTE_0
	global_load_dwordx4 v[34:37], v54, s[4:5] offset:16
	v_mul_lo_u16_sdwa v1, v64, s0 dst_sel:DWORD dst_unused:UNUSED_PAD src0_sel:BYTE_0 src1_sel:DWORD
	v_lshrrev_b16_e32 v33, 10, v1
	v_mul_lo_u16_e32 v1, 5, v33
	v_sub_u16_e32 v65, v64, v1
	v_lshlrev_b32_sdwa v5, v0, v65 dst_sel:DWORD dst_unused:UNUSED_PAD src0_sel:DWORD src1_sel:BYTE_0
	global_load_dwordx4 v[46:49], v5, s[4:5] offset:16
	global_load_dwordx4 v[0:3], v4, s[4:5]
	ds_read2_b32 v[38:39], v51 offset0:225 offset1:250
	ds_read2_b32 v[42:43], v40 offset0:19 offset1:44
	global_load_dwordx4 v[4:7], v5, s[4:5]
	s_movk_i32 s0, 0x64
	s_waitcnt vmcnt(4) lgkmcnt(1)
	v_mul_f32_e32 v55, v38, v9
	v_fma_f32 v66, v24, v8, -v55
	v_mul_f32_e32 v24, v24, v9
	v_fmac_f32_e32 v24, v38, v8
	s_waitcnt lgkmcnt(0)
	v_mul_f32_e32 v8, v43, v11
	v_fma_f32 v38, v23, v10, -v8
	v_mul_f32_e32 v23, v23, v11
	v_fmac_f32_e32 v23, v43, v10
	global_load_dwordx4 v[8:11], v54, s[4:5]
	ds_read2_b32 v[54:55], v40 offset0:69 offset1:94
	s_waitcnt vmcnt(4)
	v_mul_f32_e32 v43, v39, v35
	v_fma_f32 v43, v25, v34, -v43
	v_mul_f32_e32 v25, v25, v35
	v_fmac_f32_e32 v25, v39, v34
	s_waitcnt lgkmcnt(0)
	v_mul_f32_e32 v34, v54, v37
	v_fma_f32 v34, v20, v36, -v34
	v_mul_f32_e32 v35, v20, v37
	s_waitcnt vmcnt(3)
	v_mul_f32_e32 v20, v42, v47
	v_fmac_f32_e32 v35, v54, v36
	v_fma_f32 v36, v22, v46, -v20
	v_mul_f32_e32 v22, v22, v47
	v_mul_f32_e32 v20, v55, v49
	;; [unrolled: 1-line block ×3, first 2 shown]
	v_fmac_f32_e32 v22, v42, v46
	v_fma_f32 v37, v21, v48, -v20
	v_fmac_f32_e32 v39, v55, v48
	ds_read_b32 v42, v41
	ds_read2_b32 v[20:21], v51 offset0:125 offset1:150
	ds_read_b32 v46, v45
	ds_read_b32 v47, v44
	;; [unrolled: 1-line block ×4, first 2 shown]
	s_waitcnt vmcnt(2) lgkmcnt(5)
	v_mul_f32_e32 v54, v42, v1
	v_fma_f32 v54, v53, v0, -v54
	v_mul_f32_e32 v53, v53, v1
	v_fmac_f32_e32 v53, v42, v0
	s_waitcnt lgkmcnt(4)
	v_mul_f32_e32 v0, v21, v3
	v_fma_f32 v42, v19, v2, -v0
	ds_read2_b32 v[0:1], v51 offset0:175 offset1:200
	v_mul_f32_e32 v3, v19, v3
	v_fmac_f32_e32 v3, v21, v2
	s_waitcnt vmcnt(1)
	v_mul_f32_e32 v2, v20, v5
	v_mul_f32_e32 v5, v18, v5
	v_fma_f32 v2, v18, v4, -v2
	v_fmac_f32_e32 v5, v20, v4
	s_waitcnt lgkmcnt(0)
	v_mul_f32_e32 v4, v1, v7
	v_mul_f32_e32 v7, v17, v7
	v_fmac_f32_e32 v7, v1, v6
	v_fma_f32 v4, v17, v6, -v4
	v_sub_f32_e32 v17, v53, v23
	v_sub_f32_e32 v18, v54, v42
	;; [unrolled: 1-line block ×3, first 2 shown]
	v_add_f32_e32 v18, v18, v19
	v_sub_f32_e32 v20, v3, v24
	v_add_f32_e32 v21, v54, v38
	s_barrier
	s_waitcnt vmcnt(0)
	v_mul_f32_e32 v1, v0, v11
	v_fma_f32 v1, v16, v10, -v1
	v_mul_f32_e32 v6, v16, v11
	v_add_f32_e32 v16, v42, v66
	v_fma_f32 v16, -0.5, v16, v28
	v_fmamk_f32 v19, v17, 0x3f737871, v16
	v_fmac_f32_e32 v16, 0xbf737871, v17
	v_fmac_f32_e32 v6, v0, v10
	v_mul_f32_e32 v0, v47, v9
	v_fmac_f32_e32 v19, 0x3f167918, v20
	v_fmac_f32_e32 v16, 0xbf167918, v20
	v_fma_f32 v0, v30, v8, -v0
	v_mul_f32_e32 v9, v30, v9
	v_fmac_f32_e32 v19, 0x3e9e377a, v18
	v_fmac_f32_e32 v16, 0x3e9e377a, v18
	v_add_f32_e32 v18, v28, v54
	v_fmac_f32_e32 v28, -0.5, v21
	v_sub_f32_e32 v21, v42, v54
	v_sub_f32_e32 v30, v66, v38
	v_add_f32_e32 v21, v21, v30
	v_fmamk_f32 v30, v20, 0xbf737871, v28
	v_fmac_f32_e32 v28, 0x3f737871, v20
	v_fmac_f32_e32 v30, 0x3f167918, v17
	;; [unrolled: 1-line block ×3, first 2 shown]
	v_add_f32_e32 v17, v18, v42
	v_add_f32_e32 v17, v17, v66
	v_fmac_f32_e32 v30, 0x3e9e377a, v21
	v_fmac_f32_e32 v28, 0x3e9e377a, v21
	v_add_f32_e32 v17, v17, v38
	v_sub_f32_e32 v18, v54, v38
	v_sub_f32_e32 v21, v53, v3
	;; [unrolled: 1-line block ×3, first 2 shown]
	v_add_f32_e32 v21, v21, v38
	v_add_f32_e32 v38, v3, v24
	v_fma_f32 v38, -0.5, v38, v49
	v_sub_f32_e32 v20, v42, v66
	v_fmamk_f32 v42, v18, 0xbf737871, v38
	v_fmac_f32_e32 v38, 0x3f737871, v18
	v_fmac_f32_e32 v42, 0xbf167918, v20
	;; [unrolled: 1-line block ×5, first 2 shown]
	v_add_f32_e32 v21, v49, v53
	v_fmac_f32_e32 v9, v47, v8
	v_add_f32_e32 v47, v53, v23
	v_add_f32_e32 v21, v21, v3
	v_fmac_f32_e32 v49, -0.5, v47
	v_add_f32_e32 v21, v21, v24
	v_sub_f32_e32 v3, v3, v53
	v_add_f32_e32 v47, v21, v23
	v_sub_f32_e32 v21, v24, v23
	v_fmamk_f32 v53, v20, 0x3f737871, v49
	v_fmac_f32_e32 v49, 0xbf737871, v20
	v_add_f32_e32 v3, v3, v21
	v_fmac_f32_e32 v53, 0xbf167918, v18
	v_fmac_f32_e32 v49, 0x3f167918, v18
	;; [unrolled: 1-line block ×4, first 2 shown]
	v_add_f32_e32 v3, v1, v43
	v_sub_f32_e32 v18, v0, v1
	v_sub_f32_e32 v20, v34, v43
	v_fma_f32 v3, -0.5, v3, v27
	v_add_f32_e32 v18, v18, v20
	v_sub_f32_e32 v20, v9, v35
	v_fmamk_f32 v21, v20, 0x3f737871, v3
	v_sub_f32_e32 v23, v6, v25
	v_fmac_f32_e32 v3, 0xbf737871, v20
	v_fmac_f32_e32 v21, 0x3f167918, v23
	;; [unrolled: 1-line block ×3, first 2 shown]
	v_add_f32_e32 v24, v0, v34
	v_fmac_f32_e32 v21, 0x3e9e377a, v18
	v_fmac_f32_e32 v3, 0x3e9e377a, v18
	v_add_f32_e32 v18, v27, v0
	v_fmac_f32_e32 v27, -0.5, v24
	v_sub_f32_e32 v24, v1, v0
	v_sub_f32_e32 v54, v43, v34
	v_add_f32_e32 v24, v24, v54
	v_fmamk_f32 v54, v23, 0xbf737871, v27
	v_fmac_f32_e32 v27, 0x3f737871, v23
	v_fmac_f32_e32 v54, 0x3f167918, v20
	v_fmac_f32_e32 v27, 0xbf167918, v20
	v_add_f32_e32 v18, v18, v1
	v_sub_f32_e32 v20, v9, v6
	v_sub_f32_e32 v23, v35, v25
	v_add_f32_e32 v18, v18, v43
	v_add_f32_e32 v20, v20, v23
	;; [unrolled: 1-line block ×4, first 2 shown]
	v_sub_f32_e32 v0, v0, v34
	v_fma_f32 v34, -0.5, v23, v48
	v_sub_f32_e32 v1, v1, v43
	v_fmamk_f32 v43, v0, 0xbf737871, v34
	v_fmac_f32_e32 v34, 0x3f737871, v0
	v_fmac_f32_e32 v43, 0xbf167918, v1
	;; [unrolled: 1-line block ×5, first 2 shown]
	v_add_f32_e32 v20, v48, v9
	v_add_f32_e32 v23, v9, v35
	;; [unrolled: 1-line block ×3, first 2 shown]
	v_fmac_f32_e32 v48, -0.5, v23
	v_sub_f32_e32 v6, v6, v9
	v_add_f32_e32 v9, v20, v25
	v_add_f32_e32 v9, v9, v35
	v_sub_f32_e32 v20, v25, v35
	v_fmamk_f32 v35, v1, 0x3f737871, v48
	v_fmac_f32_e32 v48, 0xbf737871, v1
	v_fmac_f32_e32 v35, 0xbf167918, v0
	;; [unrolled: 1-line block ×3, first 2 shown]
	v_sub_f32_e32 v0, v2, v4
	v_sub_f32_e32 v1, v37, v36
	v_add_f32_e32 v6, v6, v20
	v_add_f32_e32 v0, v0, v1
	;; [unrolled: 1-line block ×3, first 2 shown]
	v_fmac_f32_e32 v35, 0x3e9e377a, v6
	v_fmac_f32_e32 v48, 0x3e9e377a, v6
	v_fma_f32 v1, -0.5, v1, v26
	v_sub_f32_e32 v6, v5, v39
	v_fmamk_f32 v20, v6, 0x3f737871, v1
	v_sub_f32_e32 v23, v7, v22
	v_fmac_f32_e32 v1, 0xbf737871, v6
	v_fmac_f32_e32 v54, 0x3e9e377a, v24
	;; [unrolled: 1-line block ×5, first 2 shown]
	v_add_f32_e32 v24, v2, v37
	v_fmac_f32_e32 v20, 0x3e9e377a, v0
	v_fmac_f32_e32 v1, 0x3e9e377a, v0
	v_add_f32_e32 v0, v26, v2
	v_fmac_f32_e32 v26, -0.5, v24
	v_sub_f32_e32 v24, v4, v2
	v_sub_f32_e32 v25, v36, v37
	v_add_f32_e32 v24, v24, v25
	v_fmamk_f32 v25, v23, 0xbf737871, v26
	v_fmac_f32_e32 v26, 0x3f737871, v23
	v_fmac_f32_e32 v25, 0x3f167918, v6
	v_fmac_f32_e32 v26, 0xbf167918, v6
	v_sub_f32_e32 v6, v5, v7
	v_sub_f32_e32 v23, v39, v22
	v_add_f32_e32 v0, v0, v4
	v_add_f32_e32 v6, v6, v23
	v_add_f32_e32 v23, v7, v22
	v_add_f32_e32 v0, v0, v36
	v_sub_f32_e32 v2, v2, v37
	v_sub_f32_e32 v4, v4, v36
	v_fma_f32 v36, -0.5, v23, v46
	v_add_f32_e32 v0, v0, v37
	v_fmamk_f32 v37, v2, 0xbf737871, v36
	v_fmac_f32_e32 v36, 0x3f737871, v2
	v_fmac_f32_e32 v37, 0xbf167918, v4
	;; [unrolled: 1-line block ×5, first 2 shown]
	v_add_f32_e32 v6, v46, v5
	v_add_f32_e32 v23, v5, v39
	v_fmac_f32_e32 v46, -0.5, v23
	v_add_f32_e32 v6, v6, v7
	v_sub_f32_e32 v5, v7, v5
	v_sub_f32_e32 v7, v22, v39
	v_mov_b32_e32 v8, 2
	v_add_f32_e32 v5, v5, v7
	v_fmamk_f32 v7, v4, 0x3f737871, v46
	v_fmac_f32_e32 v46, 0xbf737871, v4
	v_lshlrev_b32_sdwa v10, v8, v56 dst_sel:DWORD dst_unused:UNUSED_PAD src0_sel:DWORD src1_sel:BYTE_0
	v_lshlrev_b32_sdwa v11, v8, v57 dst_sel:DWORD dst_unused:UNUSED_PAD src0_sel:DWORD src1_sel:BYTE_0
	v_fmac_f32_e32 v7, 0xbf167918, v2
	v_fmac_f32_e32 v46, 0x3f167918, v2
	v_mad_u32_u24 v2, v15, s0, 0
	v_mad_u32_u24 v4, v32, s0, 0
	v_add3_u32 v2, v2, v10, v52
	v_add3_u32 v4, v4, v11, v52
	v_lshlrev_b32_sdwa v8, v8, v65 dst_sel:DWORD dst_unused:UNUSED_PAD src0_sel:DWORD src1_sel:BYTE_0
	ds_write2_b32 v2, v17, v19 offset1:5
	ds_write2_b32 v2, v30, v28 offset0:10 offset1:15
	ds_write_b32 v2, v16 offset:80
	ds_write2_b32 v4, v18, v21 offset1:5
	ds_write2_b32 v4, v54, v27 offset0:10 offset1:15
	ds_write_b32 v4, v3 offset:80
	v_mad_u32_u24 v3, v33, s0, 0
	v_add3_u32 v3, v3, v8, v52
	v_fmac_f32_e32 v25, 0x3e9e377a, v24
	v_fmac_f32_e32 v26, 0x3e9e377a, v24
	ds_write2_b32 v3, v0, v20 offset1:5
	ds_write2_b32 v3, v25, v26 offset0:10 offset1:15
	ds_write_b32 v3, v1 offset:80
	v_mov_b32_e32 v0, 41
	v_mul_lo_u16_sdwa v0, v64, v0 dst_sel:DWORD dst_unused:UNUSED_PAD src0_sel:BYTE_0 src1_sel:DWORD
	v_lshrrev_b16_e32 v0, 10, v0
	v_mul_lo_u16_e32 v0, 25, v0
	v_add_f32_e32 v6, v6, v22
	v_sub_u16_e32 v0, v64, v0
	v_add_f32_e32 v6, v6, v39
	v_fmac_f32_e32 v7, 0x3e9e377a, v5
	v_fmac_f32_e32 v46, 0x3e9e377a, v5
	s_waitcnt lgkmcnt(0)
	s_barrier
	ds_read2_b32 v[20:21], v51 offset0:125 offset1:150
	ds_read2_b32 v[22:23], v51 offset0:225 offset1:250
	;; [unrolled: 1-line block ×5, first 2 shown]
	ds_read_b32 v28, v31
	ds_read_b32 v30, v41
	;; [unrolled: 1-line block ×5, first 2 shown]
	s_waitcnt lgkmcnt(0)
	s_barrier
	ds_write2_b32 v2, v47, v42 offset1:5
	ds_write2_b32 v2, v53, v49 offset0:10 offset1:15
	ds_write_b32 v2, v38 offset:80
	ds_write2_b32 v4, v9, v43 offset1:5
	ds_write2_b32 v4, v35, v48 offset0:10 offset1:15
	ds_write_b32 v4, v34 offset:80
	;; [unrolled: 3-line block ×3, first 2 shown]
	v_and_b32_e32 v38, 0xff, v0
	v_lshlrev_b32_e32 v36, 5, v38
	s_waitcnt lgkmcnt(0)
	s_barrier
	global_load_dwordx4 v[0:3], v36, s[4:5] offset:160
	v_mov_b32_e32 v15, 0
	v_lshl_add_u64 v[34:35], v[14:15], 3, s[4:5]
	global_load_dwordx4 v[4:7], v[34:35], off offset:160
	global_load_dwordx4 v[8:11], v[34:35], off offset:176
	global_load_dwordx4 v[16:19], v36, s[4:5] offset:176
	ds_read2_b32 v[34:35], v51 offset0:125 offset1:150
	ds_read2_b32 v[36:37], v51 offset0:175 offset1:200
	s_waitcnt vmcnt(3) lgkmcnt(1)
	v_mul_f32_e32 v14, v34, v1
	v_mul_f32_e32 v42, v20, v1
	v_fma_f32 v14, v20, v0, -v14
	v_fmac_f32_e32 v42, v34, v0
	s_waitcnt lgkmcnt(0)
	v_mul_f32_e32 v0, v37, v3
	v_fma_f32 v34, v27, v2, -v0
	v_mul_f32_e32 v27, v27, v3
	v_fmac_f32_e32 v27, v37, v2
	ds_read2_b32 v[0:1], v51 offset0:225 offset1:250
	ds_read2_b32 v[2:3], v40 offset0:19 offset1:44
	ds_read_b32 v46, v41
	s_waitcnt vmcnt(2)
	v_mul_f32_e32 v20, v35, v7
	v_fma_f32 v37, v21, v6, -v20
	v_mul_f32_e32 v43, v21, v7
	v_mul_f32_e32 v20, v36, v7
	;; [unrolled: 1-line block ×3, first 2 shown]
	v_fmac_f32_e32 v43, v35, v6
	v_fma_f32 v35, v26, v6, -v20
	ds_read2_b32 v[20:21], v40 offset0:69 offset1:94
	v_fmac_f32_e32 v7, v36, v6
	ds_read_b32 v36, v45
	ds_read_b32 v6, v44
	;; [unrolled: 1-line block ×4, first 2 shown]
	s_waitcnt lgkmcnt(5)
	v_mul_f32_e32 v26, v46, v5
	v_fma_f32 v26, v30, v4, -v26
	v_mul_f32_e32 v30, v30, v5
	v_fmac_f32_e32 v30, v46, v4
	s_waitcnt lgkmcnt(2)
	v_mul_f32_e32 v46, v6, v5
	v_mul_f32_e32 v5, v52, v5
	v_fma_f32 v46, v52, v4, -v46
	v_fmac_f32_e32 v5, v6, v4
	s_waitcnt vmcnt(1)
	v_mul_f32_e32 v4, v0, v9
	v_fma_f32 v4, v22, v8, -v4
	v_mul_f32_e32 v6, v22, v9
	v_mul_f32_e32 v22, v25, v11
	v_fmac_f32_e32 v6, v0, v8
	v_mul_f32_e32 v0, v3, v11
	v_fmac_f32_e32 v22, v3, v10
	v_mul_f32_e32 v3, v1, v9
	v_mul_f32_e32 v9, v23, v9
	v_fma_f32 v3, v23, v8, -v3
	v_fmac_f32_e32 v9, v1, v8
	v_mul_f32_e32 v1, v20, v11
	v_mul_f32_e32 v8, v32, v11
	v_fma_f32 v0, v25, v10, -v0
	v_fma_f32 v1, v32, v10, -v1
	v_fmac_f32_e32 v8, v20, v10
	s_waitcnt vmcnt(0)
	v_mul_f32_e32 v10, v2, v17
	v_mul_f32_e32 v11, v24, v17
	v_fma_f32 v10, v24, v16, -v10
	v_fmac_f32_e32 v11, v2, v16
	v_mul_f32_e32 v2, v21, v19
	v_mul_f32_e32 v16, v33, v19
	v_fma_f32 v2, v33, v18, -v2
	v_fmac_f32_e32 v16, v21, v18
	v_add_f32_e32 v18, v37, v4
	v_fma_f32 v18, -0.5, v18, v28
	v_sub_f32_e32 v19, v30, v22
	v_fmamk_f32 v20, v19, 0x3f737871, v18
	v_sub_f32_e32 v21, v43, v6
	v_sub_f32_e32 v23, v26, v37
	;; [unrolled: 1-line block ×3, first 2 shown]
	v_fmac_f32_e32 v18, 0xbf737871, v19
	v_fmac_f32_e32 v20, 0x3f167918, v21
	v_add_f32_e32 v23, v23, v24
	v_fmac_f32_e32 v18, 0xbf167918, v21
	v_add_f32_e32 v17, v28, v26
	v_fmac_f32_e32 v20, 0x3e9e377a, v23
	v_fmac_f32_e32 v18, 0x3e9e377a, v23
	v_add_f32_e32 v23, v26, v0
	v_add_f32_e32 v17, v17, v37
	v_fmac_f32_e32 v28, -0.5, v23
	v_sub_f32_e32 v23, v37, v26
	v_sub_f32_e32 v24, v4, v0
	v_add_f32_e32 v17, v17, v4
	v_add_f32_e32 v23, v23, v24
	v_fmamk_f32 v24, v21, 0xbf737871, v28
	v_fmac_f32_e32 v28, 0x3f737871, v21
	v_add_f32_e32 v21, v43, v6
	v_add_f32_e32 v17, v17, v0
	v_fmac_f32_e32 v24, 0x3f167918, v19
	v_fmac_f32_e32 v28, 0xbf167918, v19
	s_waitcnt lgkmcnt(0)
	v_fma_f32 v21, -0.5, v21, v48
	v_sub_f32_e32 v0, v26, v0
	v_fmac_f32_e32 v24, 0x3e9e377a, v23
	v_fmac_f32_e32 v28, 0x3e9e377a, v23
	v_fmamk_f32 v25, v0, 0xbf737871, v21
	v_sub_f32_e32 v4, v37, v4
	v_sub_f32_e32 v23, v30, v43
	;; [unrolled: 1-line block ×3, first 2 shown]
	v_fmac_f32_e32 v21, 0x3f737871, v0
	v_fmac_f32_e32 v25, 0xbf167918, v4
	v_add_f32_e32 v23, v23, v26
	v_fmac_f32_e32 v21, 0x3f167918, v4
	v_add_f32_e32 v19, v48, v30
	v_fmac_f32_e32 v25, 0x3e9e377a, v23
	v_fmac_f32_e32 v21, 0x3e9e377a, v23
	v_add_f32_e32 v23, v30, v22
	v_add_f32_e32 v19, v19, v43
	v_fmac_f32_e32 v48, -0.5, v23
	v_add_f32_e32 v19, v19, v6
	v_fmamk_f32 v32, v4, 0x3f737871, v48
	v_sub_f32_e32 v23, v43, v30
	v_sub_f32_e32 v6, v6, v22
	v_fmac_f32_e32 v48, 0xbf737871, v4
	v_fmac_f32_e32 v32, 0xbf167918, v0
	v_add_f32_e32 v6, v23, v6
	v_fmac_f32_e32 v48, 0x3f167918, v0
	v_add_f32_e32 v4, v35, v3
	v_fmac_f32_e32 v32, 0x3e9e377a, v6
	v_fmac_f32_e32 v48, 0x3e9e377a, v6
	v_fma_f32 v4, -0.5, v4, v39
	v_sub_f32_e32 v6, v5, v8
	v_add_f32_e32 v19, v19, v22
	v_fmamk_f32 v22, v6, 0x3f737871, v4
	v_sub_f32_e32 v23, v7, v9
	v_sub_f32_e32 v26, v46, v35
	;; [unrolled: 1-line block ×3, first 2 shown]
	v_fmac_f32_e32 v4, 0xbf737871, v6
	v_fmac_f32_e32 v22, 0x3f167918, v23
	v_add_f32_e32 v26, v26, v30
	v_fmac_f32_e32 v4, 0xbf167918, v23
	v_fmac_f32_e32 v22, 0x3e9e377a, v26
	;; [unrolled: 1-line block ×3, first 2 shown]
	v_add_f32_e32 v26, v46, v1
	v_add_f32_e32 v0, v39, v46
	v_fmac_f32_e32 v39, -0.5, v26
	v_sub_f32_e32 v26, v35, v46
	v_sub_f32_e32 v30, v3, v1
	v_add_f32_e32 v26, v26, v30
	v_fmamk_f32 v30, v23, 0xbf737871, v39
	v_fmac_f32_e32 v39, 0x3f737871, v23
	v_fmac_f32_e32 v30, 0x3f167918, v6
	v_fmac_f32_e32 v39, 0xbf167918, v6
	v_add_f32_e32 v6, v47, v5
	v_add_f32_e32 v6, v6, v7
	;; [unrolled: 1-line block ×8, first 2 shown]
	v_fma_f32 v37, -0.5, v6, v47
	v_sub_f32_e32 v1, v46, v1
	v_fmamk_f32 v43, v1, 0xbf737871, v37
	v_sub_f32_e32 v3, v35, v3
	v_sub_f32_e32 v6, v5, v7
	;; [unrolled: 1-line block ×3, first 2 shown]
	v_fmac_f32_e32 v37, 0x3f737871, v1
	v_fmac_f32_e32 v43, 0xbf167918, v3
	v_add_f32_e32 v6, v6, v23
	v_fmac_f32_e32 v37, 0x3f167918, v3
	v_fmac_f32_e32 v43, 0x3e9e377a, v6
	;; [unrolled: 1-line block ×3, first 2 shown]
	v_add_f32_e32 v6, v5, v8
	v_fmac_f32_e32 v47, -0.5, v6
	v_fmamk_f32 v35, v3, 0x3f737871, v47
	v_sub_f32_e32 v5, v7, v5
	v_sub_f32_e32 v6, v9, v8
	v_fmac_f32_e32 v47, 0xbf737871, v3
	v_fmac_f32_e32 v35, 0xbf167918, v1
	v_add_f32_e32 v5, v5, v6
	v_fmac_f32_e32 v47, 0x3f167918, v1
	v_add_f32_e32 v3, v34, v10
	v_fmac_f32_e32 v35, 0x3e9e377a, v5
	v_fmac_f32_e32 v47, 0x3e9e377a, v5
	v_fma_f32 v3, -0.5, v3, v54
	v_sub_f32_e32 v5, v42, v16
	v_fmamk_f32 v6, v5, 0x3f737871, v3
	v_sub_f32_e32 v7, v27, v11
	v_sub_f32_e32 v8, v14, v34
	;; [unrolled: 1-line block ×3, first 2 shown]
	v_fmac_f32_e32 v3, 0xbf737871, v5
	v_fmac_f32_e32 v6, 0x3f167918, v7
	v_add_f32_e32 v8, v8, v9
	v_fmac_f32_e32 v3, 0xbf167918, v7
	v_fmac_f32_e32 v6, 0x3e9e377a, v8
	v_fmac_f32_e32 v3, 0x3e9e377a, v8
	v_add_f32_e32 v8, v14, v2
	v_add_f32_e32 v1, v54, v14
	v_fmac_f32_e32 v54, -0.5, v8
	v_sub_f32_e32 v8, v34, v14
	v_sub_f32_e32 v9, v10, v2
	v_add_f32_e32 v8, v8, v9
	v_fmamk_f32 v9, v7, 0xbf737871, v54
	v_fmac_f32_e32 v54, 0x3f737871, v7
	v_fmac_f32_e32 v9, 0x3f167918, v5
	;; [unrolled: 1-line block ×3, first 2 shown]
	v_add_f32_e32 v5, v36, v42
	v_add_f32_e32 v5, v5, v27
	;; [unrolled: 1-line block ×8, first 2 shown]
	v_fma_f32 v46, -0.5, v5, v36
	v_sub_f32_e32 v2, v14, v2
	v_fmac_f32_e32 v9, 0x3e9e377a, v8
	v_fmac_f32_e32 v54, 0x3e9e377a, v8
	v_fmamk_f32 v14, v2, 0xbf737871, v46
	v_sub_f32_e32 v5, v34, v10
	v_sub_f32_e32 v8, v42, v27
	;; [unrolled: 1-line block ×3, first 2 shown]
	v_fmac_f32_e32 v46, 0x3f737871, v2
	v_fmac_f32_e32 v14, 0xbf167918, v5
	v_add_f32_e32 v8, v8, v10
	v_fmac_f32_e32 v46, 0x3f167918, v5
	v_fmac_f32_e32 v14, 0x3e9e377a, v8
	;; [unrolled: 1-line block ×3, first 2 shown]
	v_add_f32_e32 v8, v42, v16
	v_fmac_f32_e32 v36, -0.5, v8
	v_sub_f32_e32 v8, v27, v42
	v_sub_f32_e32 v11, v11, v16
	v_add_f32_e32 v8, v8, v11
	v_lshl_add_u32 v11, v38, 2, v50
	v_fmamk_f32 v10, v5, 0x3f737871, v36
	v_fmac_f32_e32 v36, 0xbf737871, v5
	v_add_u32_e32 v16, 0x200, v11
	v_fmac_f32_e32 v30, 0x3e9e377a, v26
	v_fmac_f32_e32 v39, 0x3e9e377a, v26
	;; [unrolled: 1-line block ×4, first 2 shown]
	s_barrier
	ds_write2_b32 v51, v17, v20 offset1:25
	ds_write2_b32 v51, v24, v28 offset0:50 offset1:75
	ds_write2_b32 v51, v18, v0 offset0:100 offset1:125
	;; [unrolled: 1-line block ×5, first 2 shown]
	v_add_u32_e32 v1, 0x400, v11
	v_fmac_f32_e32 v10, 0x3e9e377a, v8
	v_fmac_f32_e32 v36, 0x3e9e377a, v8
	ds_write2_b32 v1, v9, v54 offset0:44 offset1:69
	ds_write_b32 v11, v3 offset:1400
	s_waitcnt lgkmcnt(0)
	s_barrier
	ds_read_b32 v30, v31
	ds_read2_b32 v[26:27], v51 offset0:125 offset1:150
	ds_read2_b32 v[2:3], v51 offset0:225 offset1:250
	;; [unrolled: 1-line block ×4, first 2 shown]
	ds_read_b32 v18, v45
	ds_read_b32 v0, v44
	;; [unrolled: 1-line block ×4, first 2 shown]
	ds_read2_b32 v[4:5], v40 offset0:69 offset1:94
	s_waitcnt lgkmcnt(0)
	s_barrier
	ds_write2_b32 v51, v19, v25 offset1:25
	ds_write2_b32 v51, v32, v48 offset0:50 offset1:75
	ds_write2_b32 v51, v21, v33 offset0:100 offset1:125
	;; [unrolled: 1-line block ×6, first 2 shown]
	ds_write_b32 v11, v46 offset:1400
	s_waitcnt lgkmcnt(0)
	s_barrier
	s_and_saveexec_b64 s[0:1], vcc
	s_cbranch_execz .LBB0_14
; %bb.13:
	v_lshlrev_b32_e32 v14, 1, v62
	v_lshl_add_u64 v[16:17], v[14:15], 3, s[4:5]
	v_lshlrev_b32_e32 v14, 1, v61
	v_lshl_add_u64 v[24:25], v[14:15], 3, s[4:5]
	;; [unrolled: 2-line block ×5, first 2 shown]
	global_load_dwordx4 v[32:35], v[10:11], off offset:960
	ds_read2_b32 v[14:15], v51 offset0:225 offset1:250
	ds_read2_b32 v[10:11], v40 offset0:69 offset1:94
	ds_read2_b32 v[20:21], v51 offset0:175 offset1:200
	ds_read2_b32 v[46:47], v51 offset0:125 offset1:150
	global_load_dwordx4 v[36:39], v[36:37], off offset:960
	ds_read_b32 v19, v45
	ds_read_b32 v1, v44
	ds_read_b32 v29, v29
	ds_read_b32 v7, v41
	ds_read_b32 v31, v31
	v_mad_u64_u32 v[44:45], s[0:1], s8, v58, 0
	s_waitcnt lgkmcnt(8)
	v_mov_b32_e32 v62, v15
	v_add_u32_e32 v61, 0xfa, v58
	v_mov_b32_e32 v48, v3
	v_mov_b32_e32 v50, v3
	;; [unrolled: 1-line block ×3, first 2 shown]
	v_add_u32_e32 v41, 0x7d, v58
	v_mad_u64_u32 v[52:53], s[0:1], s8, v60, 0
	v_mad_u64_u32 v[66:67], s[0:1], s8, v61, 0
	v_add_u32_e32 v3, 0x96, v58
	v_mad_u64_u32 v[56:57], s[0:1], s8, v41, 0
	s_mov_b32 s2, 0x10624dd3
	s_waitcnt vmcnt(1) lgkmcnt(5)
	v_pk_mul_f32 v[64:65], v[32:33], v[46:47] op_sel_hi:[1,0]
	v_pk_mul_f32 v[62:63], v[34:35], v[62:63] op_sel_hi:[1,0]
	v_mov_b32_e32 v46, v27
	v_pk_fma_f32 v[48:49], v[48:49], v[34:35], v[62:63] op_sel:[0,0,1] op_sel_hi:[1,1,0] neg_lo:[0,0,1] neg_hi:[0,0,1]
	v_pk_fma_f32 v[50:51], v[50:51], v[34:35], v[62:63] op_sel:[0,0,1] op_sel_hi:[0,1,0]
	v_pk_fma_f32 v[62:63], v[26:27], v[32:33], v[64:65] op_sel:[0,0,1] op_sel_hi:[1,1,0] neg_lo:[0,0,1] neg_hi:[0,0,1]
	v_pk_fma_f32 v[64:65], v[26:27], v[32:33], v[64:65] op_sel:[0,0,1] op_sel_hi:[0,1,0]
	v_mad_u64_u32 v[32:33], s[0:1], s9, v58, v[54:55]
	v_mov_b32_e32 v26, v53
	v_mov_b32_e32 v45, v32
	;; [unrolled: 1-line block ×3, first 2 shown]
	v_mad_u64_u32 v[34:35], s[0:1], s9, v60, v[26:27]
	v_mov_b32_e32 v26, v57
	v_mad_u64_u32 v[32:33], s[0:1], s9, v61, v[32:33]
	v_mad_u64_u32 v[60:61], s[0:1], s8, v3, 0
	;; [unrolled: 1-line block ×3, first 2 shown]
	v_mov_b32_e32 v26, v61
	v_mov_b32_e32 v53, v34
	v_mad_u64_u32 v[34:35], s[0:1], s9, v3, v[26:27]
	v_mov_b32_e32 v67, v32
	v_mov_b32_e32 v61, v34
	global_load_dwordx4 v[32:35], v[42:43], off offset:960
	v_add_u32_e32 v3, 0x113, v58
	v_mov_b32_e32 v57, v54
	v_mad_u64_u32 v[54:55], s[0:1], s8, v3, 0
	v_mov_b32_e32 v26, v55
	v_mad_u64_u32 v[68:69], s[0:1], s9, v3, v[26:27]
	v_mov_b32_e32 v63, v65
	v_mov_b32_e32 v49, v51
	s_movk_i32 s1, 0xfa
	s_mov_b32 s0, 0x3f5db3d7
	v_pk_add_f32 v[50:51], v[62:63], v[48:49]
	v_pk_add_f32 v[64:65], v[62:63], v[48:49] neg_lo:[0,1] neg_hi:[0,1]
	ds_read2_b32 v[40:41], v40 offset0:19 offset1:44
	s_waitcnt lgkmcnt(1)
	v_pk_add_f32 v[62:63], v[30:31], v[62:63]
	v_pk_fma_f32 v[30:31], v[50:51], 0.5, v[30:31] op_sel_hi:[1,0,1] neg_lo:[1,0,0] neg_hi:[1,0,0]
	v_pk_mul_f32 v[50:51], v[64:65], s[0:1] op_sel_hi:[1,0]
	v_lshl_add_u64 v[42:43], v[44:45], 3, v[12:13]
	v_pk_add_f32 v[48:49], v[62:63], v[48:49]
	v_pk_add_f32 v[62:63], v[30:31], v[50:51] op_sel:[0,1] op_sel_hi:[1,0] neg_lo:[0,1] neg_hi:[0,1]
	v_pk_add_f32 v[30:31], v[30:31], v[50:51] op_sel:[0,1] op_sel_hi:[1,0]
	v_lshl_add_u64 v[44:45], v[52:53], 3, v[12:13]
	v_lshl_add_u64 v[52:53], v[56:57], 3, v[12:13]
	global_store_dwordx2 v[42:43], v[48:49], off
	v_mov_b32_e32 v42, v30
	v_mov_b32_e32 v43, v63
	;; [unrolled: 1-line block ×3, first 2 shown]
	v_lshl_add_u64 v[56:57], v[66:67], 3, v[12:13]
	v_mov_b32_e32 v63, v31
	global_store_dwordx2 v[52:53], v[42:43], off
	global_store_dwordx2 v[56:57], v[62:63], off
	s_waitcnt vmcnt(4)
	v_pk_mul_f32 v[42:43], v[36:37], v[26:27] op_sel_hi:[1,0]
	v_mov_b32_e32 v26, v27
	v_pk_fma_f32 v[26:27], v[26:27], v[36:37], v[42:43] op_sel:[0,0,1] op_sel_hi:[1,1,0] neg_lo:[0,0,1] neg_hi:[0,0,1]
	v_pk_fma_f32 v[36:37], v[46:47], v[36:37], v[42:43] op_sel:[0,0,1] op_sel_hi:[0,1,0]
	v_mov_b32_e32 v27, v37
	s_waitcnt lgkmcnt(0)
	v_pk_mul_f32 v[36:37], v[38:39], v[40:41] op_sel_hi:[1,0]
	v_mul_hi_u32 v3, v59, s2
	v_pk_fma_f32 v[42:43], v[22:23], v[38:39], v[36:37] op_sel:[0,0,1] op_sel_hi:[1,1,0] neg_lo:[0,0,1] neg_hi:[0,0,1]
	v_pk_fma_f32 v[36:37], v[22:23], v[38:39], v[36:37] op_sel:[0,0,1] op_sel_hi:[0,1,0]
	v_mov_b32_e32 v43, v37
	v_pk_add_f32 v[36:37], v[26:27], v[42:43]
	v_pk_add_f32 v[38:39], v[26:27], v[42:43] neg_lo:[0,1] neg_hi:[0,1]
	v_pk_fma_f32 v[36:37], v[36:37], 0.5, v[28:29] op_sel_hi:[1,0,1] neg_lo:[1,0,0] neg_hi:[1,0,0]
	v_pk_mul_f32 v[38:39], v[38:39], s[0:1] op_sel_hi:[1,0]
	v_pk_add_f32 v[26:27], v[28:29], v[26:27]
	v_pk_add_f32 v[46:47], v[36:37], v[38:39] op_sel:[0,1] op_sel_hi:[1,0] neg_lo:[0,1] neg_hi:[0,1]
	v_pk_add_f32 v[36:37], v[36:37], v[38:39] op_sel:[0,1] op_sel_hi:[1,0]
	v_pk_add_f32 v[26:27], v[26:27], v[42:43]
	v_lshrrev_b32_e32 v3, 3, v3
	v_lshl_add_u64 v[60:61], v[60:61], 3, v[12:13]
	global_store_dwordx2 v[44:45], v[26:27], off
	v_mov_b32_e32 v26, v36
	v_mov_b32_e32 v27, v47
	v_mad_u32_u24 v3, v3, s1, v59
	v_mov_b32_e32 v55, v68
	global_store_dwordx2 v[60:61], v[26:27], off
	global_load_dwordx4 v[24:27], v[24:25], off offset:960
	v_mad_u64_u32 v[28:29], s[4:5], s8, v3, 0
	v_lshl_add_u64 v[30:31], v[54:55], 3, v[12:13]
	v_mov_b32_e32 v47, v37
	v_mov_b32_e32 v22, v29
	global_store_dwordx2 v[30:31], v[46:47], off
	v_mad_u64_u32 v[30:31], s[4:5], s9, v3, v[22:23]
	v_add_u32_e32 v15, 0x7d, v3
	v_mov_b32_e32 v29, v30
	v_mad_u64_u32 v[30:31], s[4:5], s8, v15, 0
	v_mov_b32_e32 v22, v31
	v_mad_u64_u32 v[36:37], s[4:5], s9, v15, v[22:23]
	v_add_u32_e32 v3, 0xfa, v3
	v_mov_b32_e32 v31, v36
	v_mad_u64_u32 v[36:37], s[4:5], s8, v3, 0
	v_mov_b32_e32 v22, v37
	v_mad_u64_u32 v[38:39], s[4:5], s9, v3, v[22:23]
	v_mov_b32_e32 v37, v38
	s_waitcnt vmcnt(7)
	v_pk_mul_f32 v[38:39], v[32:33], v[20:21] op_sel_hi:[1,0]
	v_mov_b32_e32 v20, v23
	v_pk_fma_f32 v[42:43], v[8:9], v[32:33], v[38:39] op_sel:[0,0,1] op_sel_hi:[1,1,0] neg_lo:[0,0,1] neg_hi:[0,0,1]
	v_pk_fma_f32 v[32:33], v[8:9], v[32:33], v[38:39] op_sel:[0,0,1] op_sel_hi:[0,1,0]
	v_mov_b32_e32 v8, v41
	v_mov_b32_e32 v43, v33
	v_pk_mul_f32 v[32:33], v[34:35], v[8:9] op_sel_hi:[1,0]
	v_mov_b32_e32 v8, v23
	v_pk_fma_f32 v[22:23], v[8:9], v[34:35], v[32:33] op_sel:[0,0,1] op_sel_hi:[1,1,0] neg_lo:[0,0,1] neg_hi:[0,0,1]
	v_pk_fma_f32 v[32:33], v[20:21], v[34:35], v[32:33] op_sel:[0,0,1] op_sel_hi:[0,1,0]
	v_mov_b32_e32 v23, v33
	v_pk_add_f32 v[32:33], v[42:43], v[22:23]
	v_pk_add_f32 v[34:35], v[42:43], v[22:23] neg_lo:[0,1] neg_hi:[0,1]
	v_pk_fma_f32 v[32:33], v[32:33], 0.5, v[18:19] op_sel_hi:[1,0,1] neg_lo:[1,0,0] neg_hi:[1,0,0]
	v_pk_mul_f32 v[34:35], v[34:35], s[0:1] op_sel_hi:[1,0]
	v_pk_add_f32 v[18:19], v[18:19], v[42:43]
	v_lshl_add_u64 v[28:29], v[28:29], 3, v[12:13]
	v_pk_add_f32 v[38:39], v[32:33], v[34:35] op_sel:[0,1] op_sel_hi:[1,0] neg_lo:[0,1] neg_hi:[0,1]
	v_pk_add_f32 v[32:33], v[32:33], v[34:35] op_sel:[0,1] op_sel_hi:[1,0]
	v_pk_add_f32 v[18:19], v[18:19], v[22:23]
	v_lshl_add_u64 v[30:31], v[30:31], 3, v[12:13]
	global_store_dwordx2 v[28:29], v[18:19], off
	v_mov_b32_e32 v18, v32
	v_mov_b32_e32 v19, v39
	global_store_dwordx2 v[30:31], v[18:19], off
	global_load_dwordx4 v[16:19], v[16:17], off offset:960
	v_add_u32_e32 v3, 0x4b, v58
	v_mul_hi_u32 v8, v3, s2
	v_lshrrev_b32_e32 v8, 3, v8
	v_mad_u32_u24 v3, v8, s1, v3
	v_mad_u64_u32 v[22:23], s[4:5], s8, v3, 0
	v_mov_b32_e32 v8, v23
	v_mad_u64_u32 v[28:29], s[4:5], s9, v3, v[8:9]
	v_add_u32_e32 v15, 0x7d, v3
	v_mov_b32_e32 v23, v28
	v_mad_u64_u32 v[28:29], s[4:5], s8, v15, 0
	v_mov_b32_e32 v8, v29
	v_mad_u64_u32 v[30:31], s[4:5], s9, v15, v[8:9]
	v_add_u32_e32 v3, 0xfa, v3
	v_mov_b32_e32 v29, v30
	v_mad_u64_u32 v[30:31], s[4:5], s8, v3, 0
	v_mov_b32_e32 v8, v31
	v_mov_b32_e32 v39, v33
	v_mad_u64_u32 v[32:33], s[4:5], s9, v3, v[8:9]
	v_mov_b32_e32 v8, v21
	v_mov_b32_e32 v31, v32
	;; [unrolled: 1-line block ×3, first 2 shown]
	v_add_u32_e32 v3, 0x64, v58
	v_lshl_add_u64 v[36:37], v[36:37], 3, v[12:13]
	v_lshl_add_u64 v[22:23], v[22:23], 3, v[12:13]
	s_waitcnt vmcnt(4)
	v_pk_mul_f32 v[20:21], v[24:25], v[8:9] op_sel_hi:[1,0]
	v_mov_b32_e32 v8, v9
	v_pk_fma_f32 v[8:9], v[8:9], v[24:25], v[20:21] op_sel:[0,0,1] op_sel_hi:[1,1,0] neg_lo:[0,0,1] neg_hi:[0,0,1]
	v_pk_fma_f32 v[20:21], v[32:33], v[24:25], v[20:21] op_sel:[0,0,1] op_sel_hi:[0,1,0]
	v_mov_b32_e32 v9, v21
	v_pk_mul_f32 v[20:21], v[26:27], v[10:11] op_sel_hi:[1,0]
	global_store_dwordx2 v[36:37], v[38:39], off
	v_pk_fma_f32 v[24:25], v[4:5], v[26:27], v[20:21] op_sel:[0,0,1] op_sel_hi:[1,1,0] neg_lo:[0,0,1] neg_hi:[0,0,1]
	v_pk_fma_f32 v[20:21], v[4:5], v[26:27], v[20:21] op_sel:[0,0,1] op_sel_hi:[0,1,0]
	v_mov_b32_e32 v25, v21
	v_pk_add_f32 v[20:21], v[8:9], v[24:25]
	v_pk_add_f32 v[26:27], v[8:9], v[24:25] neg_lo:[0,1] neg_hi:[0,1]
	v_pk_fma_f32 v[20:21], v[20:21], 0.5, v[6:7] op_sel_hi:[1,0,1] neg_lo:[1,0,0] neg_hi:[1,0,0]
	v_pk_mul_f32 v[26:27], v[26:27], s[0:1] op_sel_hi:[1,0]
	v_pk_add_f32 v[6:7], v[6:7], v[8:9]
	v_mul_hi_u32 v4, v3, s2
	v_pk_add_f32 v[32:33], v[20:21], v[26:27] op_sel:[0,1] op_sel_hi:[1,0] neg_lo:[0,1] neg_hi:[0,1]
	v_pk_add_f32 v[20:21], v[20:21], v[26:27] op_sel:[0,1] op_sel_hi:[1,0]
	v_pk_add_f32 v[6:7], v[6:7], v[24:25]
	v_lshrrev_b32_e32 v4, 3, v4
	v_lshl_add_u64 v[28:29], v[28:29], 3, v[12:13]
	global_store_dwordx2 v[22:23], v[6:7], off
	v_mov_b32_e32 v6, v20
	v_mov_b32_e32 v7, v33
	v_mad_u32_u24 v3, v4, s1, v3
	global_store_dwordx2 v[28:29], v[6:7], off
	v_mad_u64_u32 v[6:7], s[2:3], s8, v3, 0
	v_mov_b32_e32 v4, v7
	v_mad_u64_u32 v[8:9], s[2:3], s9, v3, v[4:5]
	v_add_u32_e32 v10, 0x7d, v3
	v_mov_b32_e32 v7, v8
	v_mad_u64_u32 v[8:9], s[2:3], s8, v10, 0
	v_mov_b32_e32 v4, v9
	v_mov_b32_e32 v33, v21
	v_mad_u64_u32 v[20:21], s[2:3], s9, v10, v[4:5]
	v_add_u32_e32 v3, 0xfa, v3
	v_mov_b32_e32 v9, v20
	v_mad_u64_u32 v[20:21], s[2:3], s8, v3, 0
	v_mov_b32_e32 v4, v21
	v_mad_u64_u32 v[22:23], s[2:3], s9, v3, v[4:5]
	v_mov_b32_e32 v21, v22
	v_lshl_add_u64 v[30:31], v[30:31], 3, v[12:13]
	v_lshl_add_u64 v[6:7], v[6:7], 3, v[12:13]
	s_waitcnt vmcnt(3)
	v_pk_mul_f32 v[14:15], v[16:17], v[14:15] op_sel_hi:[1,0]
	v_lshl_add_u64 v[8:9], v[8:9], 3, v[12:13]
	v_lshl_add_u64 v[12:13], v[20:21], 3, v[12:13]
	v_pk_fma_f32 v[20:21], v[2:3], v[16:17], v[14:15] op_sel:[0,0,1] op_sel_hi:[1,1,0] neg_lo:[0,0,1] neg_hi:[0,0,1]
	v_pk_fma_f32 v[2:3], v[2:3], v[16:17], v[14:15] op_sel:[0,0,1] op_sel_hi:[0,1,0]
	v_mov_b32_e32 v2, v11
	v_mov_b32_e32 v21, v3
	v_pk_mul_f32 v[2:3], v[18:19], v[2:3] op_sel_hi:[1,0]
	v_mov_b32_e32 v4, v5
	v_mov_b32_e32 v10, v5
	v_pk_fma_f32 v[4:5], v[4:5], v[18:19], v[2:3] op_sel:[0,0,1] op_sel_hi:[1,1,0] neg_lo:[0,0,1] neg_hi:[0,0,1]
	v_pk_fma_f32 v[2:3], v[10:11], v[18:19], v[2:3] op_sel:[0,0,1] op_sel_hi:[0,1,0]
	v_mov_b32_e32 v5, v3
	v_pk_add_f32 v[2:3], v[20:21], v[4:5]
	v_pk_add_f32 v[10:11], v[20:21], v[4:5] neg_lo:[0,1] neg_hi:[0,1]
	v_pk_fma_f32 v[2:3], v[2:3], 0.5, v[0:1] op_sel_hi:[1,0,1] neg_lo:[1,0,0] neg_hi:[1,0,0]
	v_pk_mul_f32 v[10:11], v[10:11], s[0:1] op_sel_hi:[1,0]
	v_pk_add_f32 v[0:1], v[0:1], v[20:21]
	v_pk_add_f32 v[14:15], v[2:3], v[10:11] op_sel:[0,1] op_sel_hi:[1,0] neg_lo:[0,1] neg_hi:[0,1]
	v_pk_add_f32 v[2:3], v[2:3], v[10:11] op_sel:[0,1] op_sel_hi:[1,0]
	v_pk_add_f32 v[0:1], v[0:1], v[4:5]
	global_store_dwordx2 v[30:31], v[32:33], off
	global_store_dwordx2 v[6:7], v[0:1], off
	v_mov_b32_e32 v0, v2
	v_mov_b32_e32 v1, v15
	;; [unrolled: 1-line block ×3, first 2 shown]
	global_store_dwordx2 v[8:9], v[0:1], off
	global_store_dwordx2 v[12:13], v[14:15], off
.LBB0_14:
	s_endpgm
	.section	.rodata,"a",@progbits
	.p2align	6, 0x0
	.amdhsa_kernel fft_rtc_fwd_len375_factors_5_5_5_3_wgs_125_tpt_25_halfLds_sp_ip_CI_sbrr_dirReg
		.amdhsa_group_segment_fixed_size 0
		.amdhsa_private_segment_fixed_size 0
		.amdhsa_kernarg_size 88
		.amdhsa_user_sgpr_count 2
		.amdhsa_user_sgpr_dispatch_ptr 0
		.amdhsa_user_sgpr_queue_ptr 0
		.amdhsa_user_sgpr_kernarg_segment_ptr 1
		.amdhsa_user_sgpr_dispatch_id 0
		.amdhsa_user_sgpr_kernarg_preload_length 0
		.amdhsa_user_sgpr_kernarg_preload_offset 0
		.amdhsa_user_sgpr_private_segment_size 0
		.amdhsa_uses_dynamic_stack 0
		.amdhsa_enable_private_segment 0
		.amdhsa_system_sgpr_workgroup_id_x 1
		.amdhsa_system_sgpr_workgroup_id_y 0
		.amdhsa_system_sgpr_workgroup_id_z 0
		.amdhsa_system_sgpr_workgroup_info 0
		.amdhsa_system_vgpr_workitem_id 0
		.amdhsa_next_free_vgpr 76
		.amdhsa_next_free_sgpr 24
		.amdhsa_accum_offset 76
		.amdhsa_reserve_vcc 1
		.amdhsa_float_round_mode_32 0
		.amdhsa_float_round_mode_16_64 0
		.amdhsa_float_denorm_mode_32 3
		.amdhsa_float_denorm_mode_16_64 3
		.amdhsa_dx10_clamp 1
		.amdhsa_ieee_mode 1
		.amdhsa_fp16_overflow 0
		.amdhsa_tg_split 0
		.amdhsa_exception_fp_ieee_invalid_op 0
		.amdhsa_exception_fp_denorm_src 0
		.amdhsa_exception_fp_ieee_div_zero 0
		.amdhsa_exception_fp_ieee_overflow 0
		.amdhsa_exception_fp_ieee_underflow 0
		.amdhsa_exception_fp_ieee_inexact 0
		.amdhsa_exception_int_div_zero 0
	.end_amdhsa_kernel
	.text
.Lfunc_end0:
	.size	fft_rtc_fwd_len375_factors_5_5_5_3_wgs_125_tpt_25_halfLds_sp_ip_CI_sbrr_dirReg, .Lfunc_end0-fft_rtc_fwd_len375_factors_5_5_5_3_wgs_125_tpt_25_halfLds_sp_ip_CI_sbrr_dirReg
                                        ; -- End function
	.section	.AMDGPU.csdata,"",@progbits
; Kernel info:
; codeLenInByte = 9100
; NumSgprs: 30
; NumVgprs: 76
; NumAgprs: 0
; TotalNumVgprs: 76
; ScratchSize: 0
; MemoryBound: 0
; FloatMode: 240
; IeeeMode: 1
; LDSByteSize: 0 bytes/workgroup (compile time only)
; SGPRBlocks: 3
; VGPRBlocks: 9
; NumSGPRsForWavesPerEU: 30
; NumVGPRsForWavesPerEU: 76
; AccumOffset: 76
; Occupancy: 6
; WaveLimiterHint : 1
; COMPUTE_PGM_RSRC2:SCRATCH_EN: 0
; COMPUTE_PGM_RSRC2:USER_SGPR: 2
; COMPUTE_PGM_RSRC2:TRAP_HANDLER: 0
; COMPUTE_PGM_RSRC2:TGID_X_EN: 1
; COMPUTE_PGM_RSRC2:TGID_Y_EN: 0
; COMPUTE_PGM_RSRC2:TGID_Z_EN: 0
; COMPUTE_PGM_RSRC2:TIDIG_COMP_CNT: 0
; COMPUTE_PGM_RSRC3_GFX90A:ACCUM_OFFSET: 18
; COMPUTE_PGM_RSRC3_GFX90A:TG_SPLIT: 0
	.text
	.p2alignl 6, 3212836864
	.fill 256, 4, 3212836864
	.type	__hip_cuid_3acfe0556b201f8e,@object ; @__hip_cuid_3acfe0556b201f8e
	.section	.bss,"aw",@nobits
	.globl	__hip_cuid_3acfe0556b201f8e
__hip_cuid_3acfe0556b201f8e:
	.byte	0                               ; 0x0
	.size	__hip_cuid_3acfe0556b201f8e, 1

	.ident	"AMD clang version 19.0.0git (https://github.com/RadeonOpenCompute/llvm-project roc-6.4.0 25133 c7fe45cf4b819c5991fe208aaa96edf142730f1d)"
	.section	".note.GNU-stack","",@progbits
	.addrsig
	.addrsig_sym __hip_cuid_3acfe0556b201f8e
	.amdgpu_metadata
---
amdhsa.kernels:
  - .agpr_count:     0
    .args:
      - .actual_access:  read_only
        .address_space:  global
        .offset:         0
        .size:           8
        .value_kind:     global_buffer
      - .offset:         8
        .size:           8
        .value_kind:     by_value
      - .actual_access:  read_only
        .address_space:  global
        .offset:         16
        .size:           8
        .value_kind:     global_buffer
      - .actual_access:  read_only
        .address_space:  global
        .offset:         24
        .size:           8
        .value_kind:     global_buffer
      - .offset:         32
        .size:           8
        .value_kind:     by_value
      - .actual_access:  read_only
        .address_space:  global
        .offset:         40
        .size:           8
        .value_kind:     global_buffer
      - .actual_access:  read_only
        .address_space:  global
        .offset:         48
        .size:           8
        .value_kind:     global_buffer
      - .offset:         56
        .size:           4
        .value_kind:     by_value
      - .actual_access:  read_only
        .address_space:  global
        .offset:         64
        .size:           8
        .value_kind:     global_buffer
      - .actual_access:  read_only
        .address_space:  global
        .offset:         72
        .size:           8
        .value_kind:     global_buffer
      - .address_space:  global
        .offset:         80
        .size:           8
        .value_kind:     global_buffer
    .group_segment_fixed_size: 0
    .kernarg_segment_align: 8
    .kernarg_segment_size: 88
    .language:       OpenCL C
    .language_version:
      - 2
      - 0
    .max_flat_workgroup_size: 125
    .name:           fft_rtc_fwd_len375_factors_5_5_5_3_wgs_125_tpt_25_halfLds_sp_ip_CI_sbrr_dirReg
    .private_segment_fixed_size: 0
    .sgpr_count:     30
    .sgpr_spill_count: 0
    .symbol:         fft_rtc_fwd_len375_factors_5_5_5_3_wgs_125_tpt_25_halfLds_sp_ip_CI_sbrr_dirReg.kd
    .uniform_work_group_size: 1
    .uses_dynamic_stack: false
    .vgpr_count:     76
    .vgpr_spill_count: 0
    .wavefront_size: 64
amdhsa.target:   amdgcn-amd-amdhsa--gfx950
amdhsa.version:
  - 1
  - 2
...

	.end_amdgpu_metadata
